;; amdgpu-corpus repo=ROCm/rocSPARSE kind=compiled arch=gfx1250 opt=O3
	.amdgcn_target "amdgcn-amd-amdhsa--gfx1250"
	.amdhsa_code_object_version 6
	.section	.text._ZN9rocsparseL13assign_kernelIiEEvPT_S1_,"axG",@progbits,_ZN9rocsparseL13assign_kernelIiEEvPT_S1_,comdat
	.globl	_ZN9rocsparseL13assign_kernelIiEEvPT_S1_ ; -- Begin function _ZN9rocsparseL13assign_kernelIiEEvPT_S1_
	.p2align	8
	.type	_ZN9rocsparseL13assign_kernelIiEEvPT_S1_,@function
_ZN9rocsparseL13assign_kernelIiEEvPT_S1_: ; @_ZN9rocsparseL13assign_kernelIiEEvPT_S1_
; %bb.0:
	s_load_b96 s[0:2], s[0:1], 0x0
	s_wait_kmcnt 0x0
	v_dual_mov_b32 v0, 0 :: v_dual_mov_b32 v1, s2
	global_store_b32 v0, v1, s[0:1]
	s_endpgm
	.section	.rodata,"a",@progbits
	.p2align	6, 0x0
	.amdhsa_kernel _ZN9rocsparseL13assign_kernelIiEEvPT_S1_
		.amdhsa_group_segment_fixed_size 0
		.amdhsa_private_segment_fixed_size 0
		.amdhsa_kernarg_size 12
		.amdhsa_user_sgpr_count 2
		.amdhsa_user_sgpr_dispatch_ptr 0
		.amdhsa_user_sgpr_queue_ptr 0
		.amdhsa_user_sgpr_kernarg_segment_ptr 1
		.amdhsa_user_sgpr_dispatch_id 0
		.amdhsa_user_sgpr_kernarg_preload_length 0
		.amdhsa_user_sgpr_kernarg_preload_offset 0
		.amdhsa_user_sgpr_private_segment_size 0
		.amdhsa_wavefront_size32 1
		.amdhsa_uses_dynamic_stack 0
		.amdhsa_enable_private_segment 0
		.amdhsa_system_sgpr_workgroup_id_x 1
		.amdhsa_system_sgpr_workgroup_id_y 0
		.amdhsa_system_sgpr_workgroup_id_z 0
		.amdhsa_system_sgpr_workgroup_info 0
		.amdhsa_system_vgpr_workitem_id 0
		.amdhsa_next_free_vgpr 2
		.amdhsa_next_free_sgpr 3
		.amdhsa_named_barrier_count 0
		.amdhsa_reserve_vcc 0
		.amdhsa_float_round_mode_32 0
		.amdhsa_float_round_mode_16_64 0
		.amdhsa_float_denorm_mode_32 3
		.amdhsa_float_denorm_mode_16_64 3
		.amdhsa_fp16_overflow 0
		.amdhsa_memory_ordered 1
		.amdhsa_forward_progress 1
		.amdhsa_inst_pref_size 1
		.amdhsa_round_robin_scheduling 0
		.amdhsa_exception_fp_ieee_invalid_op 0
		.amdhsa_exception_fp_denorm_src 0
		.amdhsa_exception_fp_ieee_div_zero 0
		.amdhsa_exception_fp_ieee_overflow 0
		.amdhsa_exception_fp_ieee_underflow 0
		.amdhsa_exception_fp_ieee_inexact 0
		.amdhsa_exception_int_div_zero 0
	.end_amdhsa_kernel
	.section	.text._ZN9rocsparseL13assign_kernelIiEEvPT_S1_,"axG",@progbits,_ZN9rocsparseL13assign_kernelIiEEvPT_S1_,comdat
.Lfunc_end0:
	.size	_ZN9rocsparseL13assign_kernelIiEEvPT_S1_, .Lfunc_end0-_ZN9rocsparseL13assign_kernelIiEEvPT_S1_
                                        ; -- End function
	.set _ZN9rocsparseL13assign_kernelIiEEvPT_S1_.num_vgpr, 2
	.set _ZN9rocsparseL13assign_kernelIiEEvPT_S1_.num_agpr, 0
	.set _ZN9rocsparseL13assign_kernelIiEEvPT_S1_.numbered_sgpr, 3
	.set _ZN9rocsparseL13assign_kernelIiEEvPT_S1_.num_named_barrier, 0
	.set _ZN9rocsparseL13assign_kernelIiEEvPT_S1_.private_seg_size, 0
	.set _ZN9rocsparseL13assign_kernelIiEEvPT_S1_.uses_vcc, 0
	.set _ZN9rocsparseL13assign_kernelIiEEvPT_S1_.uses_flat_scratch, 0
	.set _ZN9rocsparseL13assign_kernelIiEEvPT_S1_.has_dyn_sized_stack, 0
	.set _ZN9rocsparseL13assign_kernelIiEEvPT_S1_.has_recursion, 0
	.set _ZN9rocsparseL13assign_kernelIiEEvPT_S1_.has_indirect_call, 0
	.section	.AMDGPU.csdata,"",@progbits
; Kernel info:
; codeLenInByte = 36
; TotalNumSgprs: 3
; NumVgprs: 2
; ScratchSize: 0
; MemoryBound: 0
; FloatMode: 240
; IeeeMode: 1
; LDSByteSize: 0 bytes/workgroup (compile time only)
; SGPRBlocks: 0
; VGPRBlocks: 0
; NumSGPRsForWavesPerEU: 3
; NumVGPRsForWavesPerEU: 2
; NamedBarCnt: 0
; Occupancy: 16
; WaveLimiterHint : 0
; COMPUTE_PGM_RSRC2:SCRATCH_EN: 0
; COMPUTE_PGM_RSRC2:USER_SGPR: 2
; COMPUTE_PGM_RSRC2:TRAP_HANDLER: 0
; COMPUTE_PGM_RSRC2:TGID_X_EN: 1
; COMPUTE_PGM_RSRC2:TGID_Y_EN: 0
; COMPUTE_PGM_RSRC2:TGID_Z_EN: 0
; COMPUTE_PGM_RSRC2:TIDIG_COMP_CNT: 0
	.section	.text._ZN9rocsparseL13assign_kernelIlEEvPT_S1_,"axG",@progbits,_ZN9rocsparseL13assign_kernelIlEEvPT_S1_,comdat
	.globl	_ZN9rocsparseL13assign_kernelIlEEvPT_S1_ ; -- Begin function _ZN9rocsparseL13assign_kernelIlEEvPT_S1_
	.p2align	8
	.type	_ZN9rocsparseL13assign_kernelIlEEvPT_S1_,@function
_ZN9rocsparseL13assign_kernelIlEEvPT_S1_: ; @_ZN9rocsparseL13assign_kernelIlEEvPT_S1_
; %bb.0:
	s_load_b128 s[0:3], s[0:1], 0x0
	s_wait_kmcnt 0x0
	v_dual_mov_b32 v2, 0 :: v_dual_mov_b32 v0, s2
	v_mov_b32_e32 v1, s3
	global_store_b64 v2, v[0:1], s[0:1]
	s_endpgm
	.section	.rodata,"a",@progbits
	.p2align	6, 0x0
	.amdhsa_kernel _ZN9rocsparseL13assign_kernelIlEEvPT_S1_
		.amdhsa_group_segment_fixed_size 0
		.amdhsa_private_segment_fixed_size 0
		.amdhsa_kernarg_size 16
		.amdhsa_user_sgpr_count 2
		.amdhsa_user_sgpr_dispatch_ptr 0
		.amdhsa_user_sgpr_queue_ptr 0
		.amdhsa_user_sgpr_kernarg_segment_ptr 1
		.amdhsa_user_sgpr_dispatch_id 0
		.amdhsa_user_sgpr_kernarg_preload_length 0
		.amdhsa_user_sgpr_kernarg_preload_offset 0
		.amdhsa_user_sgpr_private_segment_size 0
		.amdhsa_wavefront_size32 1
		.amdhsa_uses_dynamic_stack 0
		.amdhsa_enable_private_segment 0
		.amdhsa_system_sgpr_workgroup_id_x 1
		.amdhsa_system_sgpr_workgroup_id_y 0
		.amdhsa_system_sgpr_workgroup_id_z 0
		.amdhsa_system_sgpr_workgroup_info 0
		.amdhsa_system_vgpr_workitem_id 0
		.amdhsa_next_free_vgpr 3
		.amdhsa_next_free_sgpr 4
		.amdhsa_named_barrier_count 0
		.amdhsa_reserve_vcc 0
		.amdhsa_float_round_mode_32 0
		.amdhsa_float_round_mode_16_64 0
		.amdhsa_float_denorm_mode_32 3
		.amdhsa_float_denorm_mode_16_64 3
		.amdhsa_fp16_overflow 0
		.amdhsa_memory_ordered 1
		.amdhsa_forward_progress 1
		.amdhsa_inst_pref_size 1
		.amdhsa_round_robin_scheduling 0
		.amdhsa_exception_fp_ieee_invalid_op 0
		.amdhsa_exception_fp_denorm_src 0
		.amdhsa_exception_fp_ieee_div_zero 0
		.amdhsa_exception_fp_ieee_overflow 0
		.amdhsa_exception_fp_ieee_underflow 0
		.amdhsa_exception_fp_ieee_inexact 0
		.amdhsa_exception_int_div_zero 0
	.end_amdhsa_kernel
	.section	.text._ZN9rocsparseL13assign_kernelIlEEvPT_S1_,"axG",@progbits,_ZN9rocsparseL13assign_kernelIlEEvPT_S1_,comdat
.Lfunc_end1:
	.size	_ZN9rocsparseL13assign_kernelIlEEvPT_S1_, .Lfunc_end1-_ZN9rocsparseL13assign_kernelIlEEvPT_S1_
                                        ; -- End function
	.set _ZN9rocsparseL13assign_kernelIlEEvPT_S1_.num_vgpr, 3
	.set _ZN9rocsparseL13assign_kernelIlEEvPT_S1_.num_agpr, 0
	.set _ZN9rocsparseL13assign_kernelIlEEvPT_S1_.numbered_sgpr, 4
	.set _ZN9rocsparseL13assign_kernelIlEEvPT_S1_.num_named_barrier, 0
	.set _ZN9rocsparseL13assign_kernelIlEEvPT_S1_.private_seg_size, 0
	.set _ZN9rocsparseL13assign_kernelIlEEvPT_S1_.uses_vcc, 0
	.set _ZN9rocsparseL13assign_kernelIlEEvPT_S1_.uses_flat_scratch, 0
	.set _ZN9rocsparseL13assign_kernelIlEEvPT_S1_.has_dyn_sized_stack, 0
	.set _ZN9rocsparseL13assign_kernelIlEEvPT_S1_.has_recursion, 0
	.set _ZN9rocsparseL13assign_kernelIlEEvPT_S1_.has_indirect_call, 0
	.section	.AMDGPU.csdata,"",@progbits
; Kernel info:
; codeLenInByte = 44
; TotalNumSgprs: 4
; NumVgprs: 3
; ScratchSize: 0
; MemoryBound: 0
; FloatMode: 240
; IeeeMode: 1
; LDSByteSize: 0 bytes/workgroup (compile time only)
; SGPRBlocks: 0
; VGPRBlocks: 0
; NumSGPRsForWavesPerEU: 4
; NumVGPRsForWavesPerEU: 3
; NamedBarCnt: 0
; Occupancy: 16
; WaveLimiterHint : 0
; COMPUTE_PGM_RSRC2:SCRATCH_EN: 0
; COMPUTE_PGM_RSRC2:USER_SGPR: 2
; COMPUTE_PGM_RSRC2:TRAP_HANDLER: 0
; COMPUTE_PGM_RSRC2:TGID_X_EN: 1
; COMPUTE_PGM_RSRC2:TGID_Y_EN: 0
; COMPUTE_PGM_RSRC2:TGID_Z_EN: 0
; COMPUTE_PGM_RSRC2:TIDIG_COMP_CNT: 0
	.section	.AMDGPU.gpr_maximums,"",@progbits
	.set amdgpu.max_num_vgpr, 0
	.set amdgpu.max_num_agpr, 0
	.set amdgpu.max_num_sgpr, 0
	.section	.AMDGPU.csdata,"",@progbits
	.type	__hip_cuid_e7ef7ef3f744d601,@object ; @__hip_cuid_e7ef7ef3f744d601
	.section	.bss,"aw",@nobits
	.globl	__hip_cuid_e7ef7ef3f744d601
__hip_cuid_e7ef7ef3f744d601:
	.byte	0                               ; 0x0
	.size	__hip_cuid_e7ef7ef3f744d601, 1

	.ident	"AMD clang version 22.0.0git (https://github.com/RadeonOpenCompute/llvm-project roc-7.2.4 26084 f58b06dce1f9c15707c5f808fd002e18c2accf7e)"
	.section	".note.GNU-stack","",@progbits
	.addrsig
	.addrsig_sym __hip_cuid_e7ef7ef3f744d601
	.amdgpu_metadata
---
amdhsa.kernels:
  - .args:
      - .address_space:  global
        .offset:         0
        .size:           8
        .value_kind:     global_buffer
      - .offset:         8
        .size:           4
        .value_kind:     by_value
    .group_segment_fixed_size: 0
    .kernarg_segment_align: 8
    .kernarg_segment_size: 12
    .language:       OpenCL C
    .language_version:
      - 2
      - 0
    .max_flat_workgroup_size: 1
    .name:           _ZN9rocsparseL13assign_kernelIiEEvPT_S1_
    .private_segment_fixed_size: 0
    .sgpr_count:     3
    .sgpr_spill_count: 0
    .symbol:         _ZN9rocsparseL13assign_kernelIiEEvPT_S1_.kd
    .uniform_work_group_size: 1
    .uses_dynamic_stack: false
    .vgpr_count:     2
    .vgpr_spill_count: 0
    .wavefront_size: 32
  - .args:
      - .address_space:  global
        .offset:         0
        .size:           8
        .value_kind:     global_buffer
      - .offset:         8
        .size:           8
        .value_kind:     by_value
    .group_segment_fixed_size: 0
    .kernarg_segment_align: 8
    .kernarg_segment_size: 16
    .language:       OpenCL C
    .language_version:
      - 2
      - 0
    .max_flat_workgroup_size: 1
    .name:           _ZN9rocsparseL13assign_kernelIlEEvPT_S1_
    .private_segment_fixed_size: 0
    .sgpr_count:     4
    .sgpr_spill_count: 0
    .symbol:         _ZN9rocsparseL13assign_kernelIlEEvPT_S1_.kd
    .uniform_work_group_size: 1
    .uses_dynamic_stack: false
    .vgpr_count:     3
    .vgpr_spill_count: 0
    .wavefront_size: 32
amdhsa.target:   amdgcn-amd-amdhsa--gfx1250
amdhsa.version:
  - 1
  - 2
...

	.end_amdgpu_metadata
